;; amdgpu-corpus repo=llvm/llvm-project kind=harvested arch=n/a opt=n/a
// NOTE: Assertions have been autogenerated by utils/update_mc_test_checks.py UTC_ARGS: --unique --sort --version 6
// RUN: llvm-mc -triple=amdgcn -mcpu=gfx1200 -show-encoding %s | FileCheck -check-prefix=GFX12 %s

// Optional operands: done and row_en

export dual_src_blend0 v0, v0, v0, v0 done
// GFX12: export dual_src_blend0, v0, v0, v0, v0 done ; encoding: [0x5f,0x09,0x00,0xf8,0x00,0x00,0x00,0x00]

export dual_src_blend0 v0, v0, v0, v0 nodone
// GFX12: export dual_src_blend0, v0, v0, v0, v0  ; encoding: [0x5f,0x01,0x00,0xf8,0x00,0x00,0x00,0x00]

export dual_src_blend0 v0, v0, v0, v0 nodone norow_en
// GFX12: export dual_src_blend0, v0, v0, v0, v0  ; encoding: [0x5f,0x01,0x00,0xf8,0x00,0x00,0x00,0x00]

export dual_src_blend0 v0, v0, v0, v0 norow_en
// GFX12: export dual_src_blend0, v0, v0, v0, v0  ; encoding: [0x5f,0x01,0x00,0xf8,0x00,0x00,0x00,0x00]

export dual_src_blend0 v0, v0, v0, v0 row_en
// GFX12: export dual_src_blend0, v0, v0, v0, v0 row_en ; encoding: [0x5f,0x21,0x00,0xf8,0x00,0x00,0x00,0x00]

export mrt0 off, off, off, off
// GFX12: export mrt0, off, off, off, off         ; encoding: [0x00,0x00,0x00,0xf8,0x00,0x00,0x00,0x00]

export mrt0 off, off, off, off done
// GFX12: export mrt0, off, off, off, off done    ; encoding: [0x00,0x08,0x00,0xf8,0x00,0x00,0x00,0x00]

export mrt0 off, off, off, v1 done
// GFX12: export mrt0, off, off, off, v1 done     ; encoding: [0x08,0x08,0x00,0xf8,0x00,0x00,0x00,0x01]

export mrt0 off, off, v2, off done
// GFX12: export mrt0, off, off, v2, off done     ; encoding: [0x04,0x08,0x00,0xf8,0x00,0x00,0x02,0x00]

export mrt0 off, v3, off, off done
// GFX12: export mrt0, off, v3, off, off done     ; encoding: [0x02,0x08,0x00,0xf8,0x00,0x03,0x00,0x00]

export mrt0 v0, v0, v0, v0 done
// GFX12: export mrt0, v0, v0, v0, v0 done        ; encoding: [0x0f,0x08,0x00,0xf8,0x00,0x00,0x00,0x00]


export mrt0 v0, v0, v0, v0 nodone
// GFX12: export mrt0, v0, v0, v0, v0             ; encoding: [0x0f,0x00,0x00,0xf8,0x00,0x00,0x00,0x00]


export mrt0 v0, v0, v0, v0 nodone norow_en
// GFX12: export mrt0, v0, v0, v0, v0             ; encoding: [0x0f,0x00,0x00,0xf8,0x00,0x00,0x00,0x00]

export mrt0 v0, v0, v0, v0 norow_en
// GFX12: export mrt0, v0, v0, v0, v0             ; encoding: [0x0f,0x00,0x00,0xf8,0x00,0x00,0x00,0x00]


export mrt0 v0, v0, v0, v0 row_en
// GFX12: export mrt0, v0, v0, v0, v0 row_en      ; encoding: [0x0f,0x20,0x00,0xf8,0x00,0x00,0x00,0x00]

export mrt0 v4, off, off, off done
// GFX12: export mrt0, v4, off, off, off done     ; encoding: [0x01,0x08,0x00,0xf8,0x04,0x00,0x00,0x00]

export mrt0 v4, off, off, v1
// GFX12: export mrt0, v4, off, off, v1           ; encoding: [0x09,0x00,0x00,0xf8,0x04,0x00,0x00,0x01]

export mrt0 v4, off, off, v1 done
// GFX12: export mrt0, v4, off, off, v1 done      ; encoding: [0x09,0x08,0x00,0xf8,0x04,0x00,0x00,0x01]

export mrt0 v4, off, v2, off done
// GFX12: export mrt0, v4, off, v2, off done      ; encoding: [0x05,0x08,0x00,0xf8,0x04,0x00,0x02,0x00]

export mrt0 v4, v3, off, off done
// GFX12: export mrt0, v4, v3, off, off done      ; encoding: [0x03,0x08,0x00,0xf8,0x04,0x03,0x00,0x00]

export mrt0 v4, v3, v2, v1
// GFX12: export mrt0, v4, v3, v2, v1             ; encoding: [0x0f,0x00,0x00,0xf8,0x04,0x03,0x02,0x01]

export mrt0 v4, v3, v2, v1 done
// GFX12: export mrt0, v4, v3, v2, v1 done        ; encoding: [0x0f,0x08,0x00,0xf8,0x04,0x03,0x02,0x01]

export mrt7 v1, v1, v1, v1
// GFX12: export mrt7, v1, v1, v1, v1             ; encoding: [0x7f,0x00,0x00,0xf8,0x01,0x01,0x01,0x01]

export mrt7 v1, v1, v1, v1 done
// GFX12: export mrt7, v1, v1, v1, v1 done        ; encoding: [0x7f,0x08,0x00,0xf8,0x01,0x01,0x01,0x01]

export mrtz v0, v0, v0, v0 done
// GFX12: export mrtz, v0, v0, v0, v0 done        ; encoding: [0x8f,0x08,0x00,0xf8,0x00,0x00,0x00,0x00]

export mrtz v0, v0, v0, v0 nodone
// GFX12: export mrtz, v0, v0, v0, v0             ; encoding: [0x8f,0x00,0x00,0xf8,0x00,0x00,0x00,0x00]

export mrtz v0, v0, v0, v0 nodone norow_en
// GFX12: export mrtz, v0, v0, v0, v0             ; encoding: [0x8f,0x00,0x00,0xf8,0x00,0x00,0x00,0x00]

export mrtz v0, v0, v0, v0 norow_en
// GFX12: export mrtz, v0, v0, v0, v0             ; encoding: [0x8f,0x00,0x00,0xf8,0x00,0x00,0x00,0x00]

export mrtz v0, v0, v0, v0 row_en
// GFX12: export mrtz, v0, v0, v0, v0 row_en      ; encoding: [0x8f,0x20,0x00,0xf8,0x00,0x00,0x00,0x00]

export mrtz v4, v3, v2, v1
// GFX12: export mrtz, v4, v3, v2, v1             ; encoding: [0x8f,0x00,0x00,0xf8,0x04,0x03,0x02,0x01]

export mrtz v4, v3, v2, v1 done
// GFX12: export mrtz, v4, v3, v2, v1 done        ; encoding: [0x8f,0x08,0x00,0xf8,0x04,0x03,0x02,0x01]

export pos0 v0, v0, v0, v0 done
// GFX12: export pos0, v0, v0, v0, v0 done        ; encoding: [0xcf,0x08,0x00,0xf8,0x00,0x00,0x00,0x00]

export pos0 v0, v0, v0, v0 nodone
// GFX12: export pos0, v0, v0, v0, v0             ; encoding: [0xcf,0x00,0x00,0xf8,0x00,0x00,0x00,0x00]

export pos0 v0, v0, v0, v0 nodone norow_en
// GFX12: export pos0, v0, v0, v0, v0             ; encoding: [0xcf,0x00,0x00,0xf8,0x00,0x00,0x00,0x00]

export pos0 v0, v0, v0, v0 norow_en
// GFX12: export pos0, v0, v0, v0, v0             ; encoding: [0xcf,0x00,0x00,0xf8,0x00,0x00,0x00,0x00]

export pos0 v0, v0, v0, v0 row_en
// GFX12: export pos0, v0, v0, v0, v0 row_en      ; encoding: [0xcf,0x20,0x00,0xf8,0x00,0x00,0x00,0x00]

export pos0 v4, v3, v2, v1
// GFX12: export pos0, v4, v3, v2, v1             ; encoding: [0xcf,0x00,0x00,0xf8,0x04,0x03,0x02,0x01]

export pos0 v4, v3, v2, v1 done
// GFX12: export pos0, v4, v3, v2, v1 done        ; encoding: [0xcf,0x08,0x00,0xf8,0x04,0x03,0x02,0x01]

export pos3 v4, v3, v2, v1
// GFX12: export pos3, v4, v3, v2, v1             ; encoding: [0xff,0x00,0x00,0xf8,0x04,0x03,0x02,0x01]

export pos3 v4, v3, v2, v1 done
// GFX12: export pos3, v4, v3, v2, v1 done        ; encoding: [0xff,0x08,0x00,0xf8,0x04,0x03,0x02,0x01]

export prim v0, v0, v0, v0 done
// GFX12: export prim, v0, v0, v0, v0 done        ; encoding: [0x4f,0x09,0x00,0xf8,0x00,0x00,0x00,0x00]

export prim v0, v0, v0, v0 nodone
// GFX12: export prim, v0, v0, v0, v0             ; encoding: [0x4f,0x01,0x00,0xf8,0x00,0x00,0x00,0x00]

export prim v0, v0, v0, v0 nodone norow_en
// GFX12: export prim, v0, v0, v0, v0             ; encoding: [0x4f,0x01,0x00,0xf8,0x00,0x00,0x00,0x00]

export prim v0, v0, v0, v0 norow_en
// GFX12: export prim, v0, v0, v0, v0             ; encoding: [0x4f,0x01,0x00,0xf8,0x00,0x00,0x00,0x00]

// Check format without comma between target export and first data
export prim v0, v0, v0, v0 row_en
// GFX12: export prim, v0, v0, v0, v0 row_en      ; encoding: [0x4f,0x21,0x00,0xf8,0x00,0x00,0x00,0x00]

// Check format with comma between target export and first data
export prim, v0, v0, v0, v0 row_en
// GFX12: export prim, v0, v0, v0, v0 row_en      ; encoding: [0x4f,0x21,0x00,0xf8,0x00,0x00,0x00,0x00]
